;; amdgpu-corpus repo=llvm/llvm-project kind=harvested arch=n/a opt=n/a
// NOTE: Assertions have been autogenerated by utils/update_mc_test_checks.py UTC_ARGS: --unique --sort --version 6
// RUN: llvm-mc -triple=amdgcn -mcpu=gfx950 -show-encoding %s | FileCheck --check-prefix=GFX950 %s

v_dot2_f32_bf16 v2, -0.5, v1, v2
// GFX950: v_dot2_f32_bf16 v2, -0.5, v1, v2        ; encoding: [0x02,0x40,0x9a,0xd3,0xf1,0x02,0x0a,0x1c]

v_dot2_f32_bf16 v2, -1.0, v1, v2
// GFX950: v_dot2_f32_bf16 v2, -1.0, v1, v2        ; encoding: [0x02,0x40,0x9a,0xd3,0xf3,0x02,0x0a,0x1c]
	;; [unrolled: 3-line block ×4, first 2 shown]

v_dot2_f32_bf16 v2, 0.5, v1, v2
// GFX950: v_dot2_f32_bf16 v2, 0.5, v1, v2         ; encoding: [0x02,0x40,0x9a,0xd3,0xf0,0x02,0x0a,0x1c]

v_dot2_f32_bf16 v2, 1.0, v1, v2
// GFX950: v_dot2_f32_bf16 v2, 1.0, v1, v2         ; encoding: [0x02,0x40,0x9a,0xd3,0xf2,0x02,0x0a,0x1c]
	;; [unrolled: 3-line block ×4, first 2 shown]

v_dot2_f32_bf16 v2, v1, -0.5, v2
// GFX950: v_dot2_f32_bf16 v2, v1, -0.5, v2        ; encoding: [0x02,0x40,0x9a,0xd3,0x01,0xe3,0x09,0x1c]

v_dot2_f32_bf16 v2, v1, -1.0, v2
// GFX950: v_dot2_f32_bf16 v2, v1, -1.0, v2        ; encoding: [0x02,0x40,0x9a,0xd3,0x01,0xe7,0x09,0x1c]
	;; [unrolled: 3-line block ×4, first 2 shown]

v_dot2_f32_bf16 v2, v1, 0, v2
// GFX950: v_dot2_f32_bf16 v2, v1, 0, v2           ; encoding: [0x02,0x40,0x9a,0xd3,0x01,0x01,0x09,0x1c]

v_dot2_f32_bf16 v2, v1, 0.15915494, v2
// GFX950: v_dot2_f32_bf16 v2, v1, 0.15915494, v2  ; encoding: [0x02,0x40,0x9a,0xd3,0x01,0xf1,0x09,0x1c]

v_dot2_f32_bf16 v2, v1, 0.5, v2
// GFX950: v_dot2_f32_bf16 v2, v1, 0.5, v2         ; encoding: [0x02,0x40,0x9a,0xd3,0x01,0xe1,0x09,0x1c]

v_dot2_f32_bf16 v2, v1, 1.0, v2
// GFX950: v_dot2_f32_bf16 v2, v1, 1.0, v2         ; encoding: [0x02,0x40,0x9a,0xd3,0x01,0xe5,0x09,0x1c]
	;; [unrolled: 3-line block ×4, first 2 shown]

v_dot2_f32_bf16 v5, v1, v2, s3
// GFX950: v_dot2_f32_bf16 v5, v1, v2, s3          ; encoding: [0x05,0x40,0x9a,0xd3,0x01,0x05,0x0e,0x18]

v_dot2_f32_bf16 v5, v1, v2, v3
// GFX950: v_dot2_f32_bf16 v5, v1, v2, v3          ; encoding: [0x05,0x40,0x9a,0xd3,0x01,0x05,0x0e,0x1c]
